;; amdgpu-corpus repo=ROCm/rocFFT kind=compiled arch=gfx1030 opt=O3
	.text
	.amdgcn_target "amdgcn-amd-amdhsa--gfx1030"
	.amdhsa_code_object_version 6
	.protected	bluestein_single_fwd_len72_dim1_sp_op_CI_CI ; -- Begin function bluestein_single_fwd_len72_dim1_sp_op_CI_CI
	.globl	bluestein_single_fwd_len72_dim1_sp_op_CI_CI
	.p2align	8
	.type	bluestein_single_fwd_len72_dim1_sp_op_CI_CI,@function
bluestein_single_fwd_len72_dim1_sp_op_CI_CI: ; @bluestein_single_fwd_len72_dim1_sp_op_CI_CI
; %bb.0:
	s_load_dwordx4 s[8:11], s[4:5], 0x28
	v_mul_u32_u24_e32 v1, 0x1c72, v0
	s_mov_b32 s0, exec_lo
	v_lshrrev_b32_e32 v1, 16, v1
	v_mad_u64_u32 v[44:45], null, s6, 7, v[1:2]
	v_mov_b32_e32 v45, 0
	s_waitcnt lgkmcnt(0)
	v_cmpx_gt_u64_e64 s[8:9], v[44:45]
	s_cbranch_execz .LBB0_18
; %bb.1:
	s_clause 0x1
	s_load_dwordx4 s[0:3], s[4:5], 0x18
	s_load_dwordx4 s[12:15], s[4:5], 0x0
	v_mul_lo_u16 v1, v1, 9
	v_mul_hi_u32 v16, 0x24924925, v44
	v_sub_nc_u16 v28, v0, v1
	v_sub_nc_u32_e32 v17, v44, v16
	v_and_b32_e32 v63, 0xffff, v28
	v_lshrrev_b32_e32 v17, 1, v17
	v_lshlrev_b32_e32 v66, 3, v63
	s_waitcnt lgkmcnt(0)
	s_load_dwordx4 s[16:19], s[0:1], 0x0
	s_clause 0x5
	global_load_dwordx2 v[45:46], v66, s[12:13]
	global_load_dwordx2 v[47:48], v66, s[12:13] offset:72
	global_load_dwordx2 v[49:50], v66, s[12:13] offset:144
	;; [unrolled: 1-line block ×5, first 2 shown]
	v_add_nc_u32_e32 v16, v17, v16
	v_lshrrev_b32_e32 v16, 2, v16
	v_mul_lo_u32 v16, v16, 7
	s_waitcnt lgkmcnt(0)
	v_mad_u64_u32 v[0:1], null, s18, v44, 0
	v_mad_u64_u32 v[2:3], null, s16, v63, 0
	s_mul_i32 s0, s17, 0x48
	s_mul_hi_u32 s1, s16, 0x48
	s_mul_i32 s6, s16, 0x48
	s_add_i32 s1, s1, s0
	v_sub_nc_u32_e32 v16, v44, v16
	v_mad_u64_u32 v[4:5], null, s19, v44, v[1:2]
	v_mul_u32_u24_e32 v16, 0x48, v16
	v_lshlrev_b32_e32 v65, 3, v16
	v_mad_u64_u32 v[5:6], null, s17, v63, v[3:4]
	v_mov_b32_e32 v1, v4
	v_add_nc_u32_e32 v64, v66, v65
	v_lshlrev_b64 v[0:1], 3, v[0:1]
	v_mov_b32_e32 v3, v5
	v_add_co_u32 v0, vcc_lo, s10, v0
	v_lshlrev_b64 v[2:3], 3, v[2:3]
	v_add_co_ci_u32_e32 v1, vcc_lo, s11, v1, vcc_lo
	v_add_co_u32 v0, vcc_lo, v0, v2
	v_add_co_ci_u32_e32 v1, vcc_lo, v1, v3, vcc_lo
	v_add_co_u32 v2, vcc_lo, v0, s6
	v_add_co_ci_u32_e32 v3, vcc_lo, s1, v1, vcc_lo
	global_load_dwordx2 v[0:1], v[0:1], off
	v_add_co_u32 v4, vcc_lo, v2, s6
	v_add_co_ci_u32_e32 v5, vcc_lo, s1, v3, vcc_lo
	global_load_dwordx2 v[2:3], v[2:3], off
	v_add_co_u32 v6, vcc_lo, v4, s6
	v_add_co_ci_u32_e32 v7, vcc_lo, s1, v5, vcc_lo
	v_add_co_u32 v8, vcc_lo, v6, s6
	v_add_co_ci_u32_e32 v9, vcc_lo, s1, v7, vcc_lo
	s_clause 0x1
	global_load_dwordx2 v[4:5], v[4:5], off
	global_load_dwordx2 v[6:7], v[6:7], off
	v_add_co_u32 v10, vcc_lo, v8, s6
	v_add_co_ci_u32_e32 v11, vcc_lo, s1, v9, vcc_lo
	global_load_dwordx2 v[8:9], v[8:9], off
	v_add_co_u32 v12, vcc_lo, v10, s6
	v_add_co_ci_u32_e32 v13, vcc_lo, s1, v11, vcc_lo
	;; [unrolled: 3-line block ×3, first 2 shown]
	global_load_dwordx2 v[12:13], v[12:13], off
	s_clause 0x1
	global_load_dwordx2 v[59:60], v66, s[12:13] offset:432
	global_load_dwordx2 v[57:58], v66, s[12:13] offset:504
	global_load_dwordx2 v[14:15], v[14:15], off
	s_load_dwordx4 s[8:11], s[2:3], 0x0
	s_load_dwordx2 s[2:3], s[4:5], 0x38
	v_cmp_gt_u16_e32 vcc_lo, 6, v28
	s_waitcnt vmcnt(9)
	v_mul_f32_e32 v16, v1, v46
	v_mul_f32_e32 v17, v0, v46
	v_fmac_f32_e32 v16, v0, v45
	s_waitcnt vmcnt(8)
	v_mul_f32_e32 v0, v3, v48
	v_mul_f32_e32 v19, v2, v48
	v_fma_f32 v17, v1, v45, -v17
	v_fmac_f32_e32 v0, v2, v47
	v_fma_f32 v1, v3, v47, -v19
	s_waitcnt vmcnt(7)
	v_mul_f32_e32 v18, v5, v50
	v_mul_f32_e32 v20, v4, v50
	s_waitcnt vmcnt(6)
	v_mul_f32_e32 v2, v7, v52
	v_mul_f32_e32 v3, v6, v52
	v_fmac_f32_e32 v18, v4, v49
	v_fma_f32 v19, v5, v49, -v20
	s_waitcnt vmcnt(5)
	v_mul_f32_e32 v4, v9, v54
	v_mul_f32_e32 v5, v8, v54
	v_fmac_f32_e32 v2, v6, v51
	v_fma_f32 v3, v7, v51, -v3
	;; [unrolled: 5-line block ×3, first 2 shown]
	s_waitcnt vmcnt(2)
	v_mul_f32_e32 v8, v13, v60
	v_fmac_f32_e32 v6, v10, v55
	v_mul_f32_e32 v9, v12, v60
	s_waitcnt vmcnt(0)
	v_mul_f32_e32 v10, v15, v58
	v_mul_f32_e32 v20, v14, v58
	v_fma_f32 v7, v11, v55, -v7
	v_fmac_f32_e32 v8, v12, v59
	v_fma_f32 v9, v13, v59, -v9
	v_fmac_f32_e32 v10, v14, v57
	v_fma_f32 v11, v15, v57, -v20
	ds_write2_b64 v64, v[16:17], v[0:1] offset1:9
	ds_write2_b64 v64, v[18:19], v[2:3] offset0:18 offset1:27
	ds_write2_b64 v64, v[4:5], v[6:7] offset0:36 offset1:45
	;; [unrolled: 1-line block ×3, first 2 shown]
	s_waitcnt lgkmcnt(0)
	s_barrier
	buffer_gl0_inv
	ds_read2_b64 v[0:3], v64 offset1:9
	ds_read2_b64 v[4:7], v64 offset0:36 offset1:45
	ds_read2_b64 v[8:11], v64 offset0:18 offset1:27
	;; [unrolled: 1-line block ×3, first 2 shown]
	v_lshlrev_b16 v16, 3, v28
	s_waitcnt lgkmcnt(0)
	s_barrier
	buffer_gl0_inv
                                        ; implicit-def: $vgpr28
	v_and_b32_e32 v16, 0xffff, v16
	v_lshl_add_u32 v67, v16, 3, v65
	v_sub_f32_e32 v4, v0, v4
	v_sub_f32_e32 v5, v1, v5
	;; [unrolled: 1-line block ×8, first 2 shown]
	v_fma_f32 v0, v0, 2.0, -v4
	v_fma_f32 v1, v1, 2.0, -v5
	;; [unrolled: 1-line block ×8, first 2 shown]
	v_sub_f32_e32 v13, v4, v13
	v_add_f32_e32 v12, v5, v12
	v_sub_f32_e32 v15, v6, v15
	v_add_f32_e32 v14, v7, v14
	v_sub_f32_e32 v8, v0, v8
	v_sub_f32_e32 v9, v1, v9
	v_fma_f32 v16, v4, 2.0, -v13
	v_fma_f32 v17, v5, 2.0, -v12
	v_sub_f32_e32 v4, v2, v10
	v_sub_f32_e32 v5, v3, v11
	v_fma_f32 v6, v6, 2.0, -v15
	v_fma_f32 v7, v7, 2.0, -v14
	v_fmamk_f32 v26, v15, 0x3f3504f3, v13
	v_fmamk_f32 v27, v14, 0x3f3504f3, v12
	v_fma_f32 v10, v0, 2.0, -v8
	v_fma_f32 v11, v1, 2.0, -v9
	;; [unrolled: 1-line block ×4, first 2 shown]
	v_fmamk_f32 v2, v6, 0xbf3504f3, v16
	v_fmamk_f32 v3, v7, 0xbf3504f3, v17
	v_sub_f32_e32 v24, v8, v5
	v_add_f32_e32 v25, v9, v4
	v_fmac_f32_e32 v26, 0xbf3504f3, v14
	v_fmac_f32_e32 v27, 0x3f3504f3, v15
	v_sub_f32_e32 v0, v10, v0
	v_sub_f32_e32 v1, v11, v1
	v_fmac_f32_e32 v2, 0xbf3504f3, v7
	v_fmac_f32_e32 v3, 0x3f3504f3, v6
	v_fma_f32 v4, v8, 2.0, -v24
	v_fma_f32 v5, v9, 2.0, -v25
	;; [unrolled: 1-line block ×8, first 2 shown]
	ds_write_b128 v67, v[24:27] offset:48
	ds_write_b128 v67, v[4:7] offset:16
	;; [unrolled: 1-line block ×3, first 2 shown]
	ds_write_b128 v67, v[8:11]
	s_waitcnt lgkmcnt(0)
	s_barrier
	buffer_gl0_inv
	ds_read2_b64 v[0:3], v64 offset1:9
	ds_read2_b64 v[16:19], v64 offset0:24 offset1:33
	ds_read2_b64 v[20:23], v64 offset0:48 offset1:57
	s_and_saveexec_b32 s0, vcc_lo
	s_cbranch_execz .LBB0_3
; %bb.2:
	ds_read2_b64 v[24:27], v64 offset0:18 offset1:42
	ds_read_b64 v[28:29], v64 offset:528
.LBB0_3:
	s_or_b32 exec_lo, exec_lo, s0
	v_and_b32_e32 v30, 7, v63
	v_add_co_u32 v73, null, v63, 9
	v_add_co_u32 v68, s0, v63, 18
	v_lshlrev_b32_e32 v4, 4, v30
	v_and_b32_e32 v31, 7, v73
	v_lshrrev_b32_e32 v33, 3, v63
	v_and_b32_e32 v32, 7, v68
	v_lshrrev_b32_e32 v34, 3, v73
	global_load_dwordx4 v[8:11], v4, s[14:15]
	v_lshlrev_b32_e32 v4, 4, v31
	v_mul_u32_u24_e32 v33, 24, v33
	v_lshlrev_b32_e32 v5, 4, v32
	v_lshl_add_u32 v69, v32, 3, v65
	s_clause 0x1
	global_load_dwordx4 v[12:15], v4, s[14:15]
	global_load_dwordx4 v[4:7], v5, s[14:15]
	v_or_b32_e32 v30, v33, v30
	v_mul_u32_u24_e32 v33, 24, v34
	v_add_co_ci_u32_e64 v74, null, 0, 0, s0
	v_lshl_or_b32 v70, v68, 3, 0x1c0
	v_lshl_add_u32 v72, v30, 3, v65
	v_or_b32_e32 v30, v33, v31
	s_waitcnt vmcnt(0) lgkmcnt(0)
	s_barrier
	buffer_gl0_inv
	v_lshl_add_u32 v71, v30, 3, v65
	v_mul_f32_e32 v32, v16, v9
	v_mul_f32_e32 v33, v21, v11
	;; [unrolled: 1-line block ×4, first 2 shown]
	v_fmac_f32_e32 v32, v17, v8
	v_fma_f32 v17, v20, v10, -v33
	v_fmac_f32_e32 v34, v21, v10
	v_mul_f32_e32 v20, v19, v13
	v_mul_f32_e32 v21, v18, v13
	;; [unrolled: 1-line block ×7, first 2 shown]
	v_fma_f32 v16, v16, v8, -v31
	v_mul_f32_e32 v31, v22, v15
	v_fma_f32 v18, v18, v12, -v20
	v_fmac_f32_e32 v21, v19, v12
	v_fma_f32 v20, v22, v14, -v30
	v_fma_f32 v19, v26, v4, -v33
	v_fmac_f32_e32 v35, v27, v4
	v_fma_f32 v22, v28, v6, -v36
	v_fmac_f32_e32 v37, v29, v6
	v_fmac_f32_e32 v31, v23, v14
	v_add_f32_e32 v26, v16, v17
	v_add_f32_e32 v29, v32, v34
	;; [unrolled: 1-line block ×5, first 2 shown]
	v_sub_f32_e32 v38, v35, v37
	v_add_f32_e32 v39, v25, v35
	v_add_f32_e32 v35, v35, v37
	v_fma_f32 v0, -0.5, v26, v0
	v_fma_f32 v1, -0.5, v29, v1
	v_add_f32_e32 v26, v18, v20
	v_add_f32_e32 v29, v21, v31
	v_sub_f32_e32 v27, v32, v34
	v_sub_f32_e32 v30, v16, v17
	v_add_f32_e32 v16, v23, v17
	v_add_f32_e32 v17, v28, v34
	;; [unrolled: 1-line block ×4, first 2 shown]
	v_sub_f32_e32 v40, v19, v22
	v_fmac_f32_e32 v24, -0.5, v36
	v_fmac_f32_e32 v25, -0.5, v35
	v_add_f32_e32 v23, v2, v18
	v_sub_f32_e32 v32, v21, v31
	v_sub_f32_e32 v33, v18, v20
	v_fma_f32 v2, -0.5, v26, v2
	v_fmac_f32_e32 v3, -0.5, v29
	v_fmamk_f32 v18, v27, 0x3f5db3d7, v0
	v_fmamk_f32 v19, v30, 0xbf5db3d7, v1
	v_fmac_f32_e32 v1, 0x3f5db3d7, v30
	v_add_f32_e32 v21, v28, v31
	v_add_f32_e32 v28, v34, v22
	;; [unrolled: 1-line block ×3, first 2 shown]
	v_fmamk_f32 v30, v38, 0x3f5db3d7, v24
	v_fmac_f32_e32 v24, 0xbf5db3d7, v38
	v_fmamk_f32 v31, v40, 0xbf5db3d7, v25
	v_fmac_f32_e32 v25, 0x3f5db3d7, v40
	v_fmac_f32_e32 v0, 0xbf5db3d7, v27
	v_add_f32_e32 v20, v23, v20
	v_fmamk_f32 v22, v32, 0x3f5db3d7, v2
	v_fmamk_f32 v23, v33, 0xbf5db3d7, v3
	v_fmac_f32_e32 v2, 0xbf5db3d7, v32
	v_fmac_f32_e32 v3, 0x3f5db3d7, v33
	ds_write2_b64 v72, v[16:17], v[18:19] offset1:8
	ds_write_b64 v72, v[0:1] offset:128
	ds_write2_b64 v71, v[20:21], v[22:23] offset1:8
	ds_write_b64 v71, v[2:3] offset:128
	s_and_saveexec_b32 s0, vcc_lo
	s_cbranch_execz .LBB0_5
; %bb.4:
	v_add_nc_u32_e32 v0, v65, v70
	ds_write_b64 v0, v[30:31]
	ds_write2_b64 v69, v[28:29], v[24:25] offset0:48 offset1:64
.LBB0_5:
	s_or_b32 exec_lo, exec_lo, s0
	s_waitcnt lgkmcnt(0)
	s_barrier
	buffer_gl0_inv
	ds_read2_b64 v[32:35], v64 offset1:9
	ds_read2_b64 v[36:39], v64 offset0:24 offset1:33
	ds_read2_b64 v[40:43], v64 offset0:48 offset1:57
	v_add_co_u32 v61, s0, s12, v66
	v_add_co_ci_u32_e64 v62, null, s13, 0, s0
	s_and_saveexec_b32 s0, vcc_lo
	s_cbranch_execz .LBB0_7
; %bb.6:
	ds_read2_b64 v[28:31], v64 offset0:18 offset1:42
	ds_read_b64 v[24:25], v64 offset:528
.LBB0_7:
	s_or_b32 exec_lo, exec_lo, s0
	v_lshlrev_b32_e32 v0, 4, v63
	v_lshlrev_b32_e32 v1, 4, v73
	s_clause 0x1
	global_load_dwordx4 v[20:23], v0, s[14:15] offset:128
	global_load_dwordx4 v[16:19], v1, s[14:15] offset:128
	v_add_co_u32 v0, s0, v63, -6
	v_add_co_ci_u32_e64 v1, null, 0, -1, s0
	v_cndmask_b32_e32 v0, v0, v68, vcc_lo
	v_lshl_add_u32 v68, v63, 3, v65
	v_cndmask_b32_e32 v1, v1, v74, vcc_lo
	v_lshlrev_b64 v[0:1], 4, v[0:1]
	v_add_co_u32 v0, s0, s14, v0
	v_add_co_ci_u32_e64 v1, s0, s15, v1, s0
	global_load_dwordx4 v[0:3], v[0:1], off offset:128
	s_waitcnt vmcnt(2) lgkmcnt(1)
	v_mul_f32_e32 v26, v37, v21
	v_mul_f32_e32 v27, v36, v21
	s_waitcnt lgkmcnt(0)
	v_mul_f32_e32 v73, v41, v23
	v_mul_f32_e32 v74, v40, v23
	s_waitcnt vmcnt(1)
	v_mul_f32_e32 v75, v39, v17
	v_mul_f32_e32 v76, v38, v17
	v_fma_f32 v26, v36, v20, -v26
	v_fmac_f32_e32 v27, v37, v20
	v_fma_f32 v36, v40, v22, -v73
	v_fmac_f32_e32 v74, v41, v22
	v_fma_f32 v37, v38, v16, -v75
	v_fmac_f32_e32 v76, v39, v16
	v_add_f32_e32 v38, v32, v26
	v_add_f32_e32 v39, v26, v36
	v_sub_f32_e32 v75, v27, v74
	v_add_f32_e32 v41, v33, v27
	v_add_f32_e32 v27, v27, v74
	v_sub_f32_e32 v26, v26, v36
	v_add_f32_e32 v38, v38, v36
	v_fma_f32 v40, -0.5, v39, v32
	v_add_f32_e32 v39, v41, v74
	v_fma_f32 v41, -0.5, v27, v33
	v_mul_f32_e32 v77, v43, v19
	v_mul_f32_e32 v78, v42, v19
	v_add_f32_e32 v79, v35, v76
	v_fmamk_f32 v74, v26, 0xbf5db3d7, v41
	s_waitcnt vmcnt(0)
	v_mul_f32_e32 v27, v31, v1
	v_mul_f32_e32 v33, v30, v1
	;; [unrolled: 1-line block ×4, first 2 shown]
	v_fma_f32 v42, v42, v18, -v77
	v_fma_f32 v30, v30, v0, -v27
	v_fmac_f32_e32 v33, v31, v0
	v_fma_f32 v24, v24, v2, -v36
	v_fmac_f32_e32 v32, v25, v2
	v_fmac_f32_e32 v78, v43, v18
	;; [unrolled: 1-line block ×3, first 2 shown]
	v_add_f32_e32 v73, v37, v42
	v_add_f32_e32 v25, v30, v24
	;; [unrolled: 1-line block ×3, first 2 shown]
	v_sub_f32_e32 v77, v76, v78
	v_add_f32_e32 v76, v76, v78
	v_add_f32_e32 v43, v34, v37
	v_sub_f32_e32 v80, v37, v42
	v_sub_f32_e32 v36, v33, v32
	;; [unrolled: 1-line block ×3, first 2 shown]
	v_fma_f32 v25, -0.5, v25, v28
	v_fma_f32 v31, -0.5, v26, v29
	;; [unrolled: 1-line block ×3, first 2 shown]
	v_fmac_f32_e32 v35, -0.5, v76
	v_fmamk_f32 v73, v75, 0x3f5db3d7, v40
	v_fmac_f32_e32 v40, 0xbf5db3d7, v75
	v_fmamk_f32 v26, v36, 0xbf5db3d7, v25
	v_fmamk_f32 v27, v37, 0x3f5db3d7, v31
	v_add_f32_e32 v42, v43, v42
	v_add_f32_e32 v43, v79, v78
	v_fmamk_f32 v75, v77, 0x3f5db3d7, v34
	v_fmac_f32_e32 v34, 0xbf5db3d7, v77
	v_fmamk_f32 v76, v80, 0xbf5db3d7, v35
	v_fmac_f32_e32 v35, 0x3f5db3d7, v80
	ds_write2_b64 v68, v[73:74], v[40:41] offset0:24 offset1:48
	ds_write2_b64 v64, v[38:39], v[42:43] offset1:9
	ds_write2_b64 v64, v[75:76], v[34:35] offset0:33 offset1:57
	s_and_saveexec_b32 s0, vcc_lo
	s_cbranch_execz .LBB0_9
; %bb.8:
	v_add_f32_e32 v29, v29, v33
	v_add_f32_e32 v28, v28, v30
	v_mul_f32_e32 v30, 0x3f5db3d7, v37
	v_mul_f32_e32 v33, 0x3f5db3d7, v36
	v_add_f32_e32 v29, v29, v32
	v_add_f32_e32 v28, v28, v24
	v_sub_f32_e32 v31, v31, v30
	v_add_f32_e32 v30, v33, v25
	ds_write_b64 v64, v[28:29] offset:144
	ds_write2_b64 v68, v[30:31], v[26:27] offset0:42 offset1:66
.LBB0_9:
	s_or_b32 exec_lo, exec_lo, s0
	s_add_u32 s0, s12, 0x240
	s_addc_u32 s1, s13, 0
	s_waitcnt lgkmcnt(0)
	s_barrier
	buffer_gl0_inv
	s_clause 0x7
	global_load_dwordx2 v[24:25], v[61:62], off offset:576
	global_load_dwordx2 v[40:41], v66, s[0:1] offset:72
	global_load_dwordx2 v[42:43], v66, s[0:1] offset:144
	;; [unrolled: 1-line block ×7, first 2 shown]
	ds_read2_b64 v[28:31], v64 offset1:9
	ds_read_b64 v[81:82], v68 offset:144
	ds_read2_b64 v[32:35], v64 offset0:27 offset1:36
	ds_read2_b64 v[36:39], v64 offset0:45 offset1:54
	ds_read_b64 v[83:84], v64 offset:504
	s_waitcnt vmcnt(7) lgkmcnt(4)
	v_mul_f32_e32 v66, v29, v25
	v_mul_f32_e32 v86, v28, v25
	s_waitcnt vmcnt(6)
	v_mul_f32_e32 v87, v31, v41
	v_mul_f32_e32 v25, v30, v41
	s_waitcnt vmcnt(5) lgkmcnt(3)
	v_mul_f32_e32 v88, v82, v43
	v_mul_f32_e32 v41, v81, v43
	s_waitcnt vmcnt(4) lgkmcnt(2)
	v_mul_f32_e32 v89, v33, v62
	v_mul_f32_e32 v43, v32, v62
	s_waitcnt vmcnt(3)
	v_mul_f32_e32 v90, v35, v74
	v_mul_f32_e32 v62, v34, v74
	s_waitcnt vmcnt(2) lgkmcnt(1)
	v_mul_f32_e32 v91, v37, v76
	v_mul_f32_e32 v74, v36, v76
	s_waitcnt vmcnt(1)
	v_mul_f32_e32 v92, v39, v78
	v_mul_f32_e32 v76, v38, v78
	s_waitcnt vmcnt(0) lgkmcnt(0)
	v_mul_f32_e32 v93, v84, v80
	v_mul_f32_e32 v78, v83, v80
	v_fma_f32 v85, v28, v24, -v66
	v_fmac_f32_e32 v86, v29, v24
	v_fma_f32 v24, v30, v40, -v87
	v_fmac_f32_e32 v25, v31, v40
	;; [unrolled: 2-line block ×8, first 2 shown]
	ds_write2_b64 v64, v[85:86], v[24:25] offset1:9
	ds_write_b64 v68, v[40:41] offset:144
	ds_write2_b64 v64, v[42:43], v[61:62] offset0:27 offset1:36
	ds_write2_b64 v64, v[73:74], v[75:76] offset0:45 offset1:54
	ds_write_b64 v64, v[77:78] offset:504
	s_waitcnt lgkmcnt(0)
	s_barrier
	buffer_gl0_inv
	ds_read2_b64 v[28:31], v64 offset1:9
	ds_read2_b64 v[32:35], v64 offset0:27 offset1:36
	ds_read2_b64 v[36:39], v64 offset0:45 offset1:54
	ds_read_b64 v[24:25], v68 offset:144
	ds_read_b64 v[40:41], v64 offset:504
	s_waitcnt lgkmcnt(0)
	s_barrier
	buffer_gl0_inv
	v_sub_f32_e32 v34, v28, v34
	v_sub_f32_e32 v35, v29, v35
	;; [unrolled: 1-line block ×8, first 2 shown]
	v_fma_f32 v28, v28, 2.0, -v34
	v_fma_f32 v29, v29, 2.0, -v35
	;; [unrolled: 1-line block ×8, first 2 shown]
	v_add_f32_e32 v39, v34, v39
	v_sub_f32_e32 v61, v35, v38
	v_add_f32_e32 v32, v36, v41
	v_sub_f32_e32 v33, v37, v40
	v_sub_f32_e32 v24, v28, v24
	;; [unrolled: 1-line block ×3, first 2 shown]
	v_fma_f32 v62, v34, 2.0, -v39
	v_fma_f32 v66, v35, 2.0, -v61
	v_sub_f32_e32 v38, v42, v30
	v_sub_f32_e32 v40, v43, v31
	v_fma_f32 v36, v36, 2.0, -v32
	v_fma_f32 v37, v37, 2.0, -v33
	v_fmamk_f32 v30, v32, 0x3f3504f3, v39
	v_fmamk_f32 v31, v33, 0x3f3504f3, v61
	v_fma_f32 v41, v28, 2.0, -v24
	v_fma_f32 v73, v29, 2.0, -v25
	;; [unrolled: 1-line block ×4, first 2 shown]
	v_fmamk_f32 v34, v36, 0xbf3504f3, v62
	v_fmamk_f32 v35, v37, 0xbf3504f3, v66
	v_add_f32_e32 v28, v24, v40
	v_sub_f32_e32 v29, v25, v38
	v_fmac_f32_e32 v30, 0x3f3504f3, v33
	v_fmac_f32_e32 v31, 0xbf3504f3, v32
	v_sub_f32_e32 v32, v41, v42
	v_sub_f32_e32 v33, v73, v43
	v_fmac_f32_e32 v34, 0x3f3504f3, v37
	v_fmac_f32_e32 v35, 0xbf3504f3, v36
	v_fma_f32 v36, v24, 2.0, -v28
	v_fma_f32 v37, v25, 2.0, -v29
	;; [unrolled: 1-line block ×8, first 2 shown]
	ds_write_b128 v67, v[28:31] offset:48
	ds_write_b128 v67, v[36:39] offset:16
	;; [unrolled: 1-line block ×3, first 2 shown]
	ds_write_b128 v67, v[40:43]
	s_waitcnt lgkmcnt(0)
	s_barrier
	buffer_gl0_inv
	ds_read2_b64 v[32:35], v64 offset1:9
	ds_read2_b64 v[40:43], v64 offset0:24 offset1:33
	ds_read2_b64 v[36:39], v64 offset0:48 offset1:57
	s_and_saveexec_b32 s0, vcc_lo
	s_cbranch_execz .LBB0_11
; %bb.10:
	ds_read2_b64 v[24:27], v64 offset0:42 offset1:66
	ds_read_b64 v[28:29], v68 offset:144
	s_waitcnt lgkmcnt(1)
	v_mov_b32_e32 v30, v24
	v_mov_b32_e32 v31, v25
.LBB0_11:
	s_or_b32 exec_lo, exec_lo, s0
	s_waitcnt lgkmcnt(1)
	v_mul_f32_e32 v24, v9, v41
	v_mul_f32_e32 v9, v9, v40
	s_waitcnt lgkmcnt(0)
	v_mul_f32_e32 v25, v11, v37
	v_mul_f32_e32 v11, v11, v36
	v_fmac_f32_e32 v24, v8, v40
	v_fma_f32 v9, v8, v41, -v9
	v_mul_f32_e32 v40, v13, v43
	v_fmac_f32_e32 v25, v10, v36
	v_mul_f32_e32 v8, v13, v42
	v_mul_f32_e32 v13, v15, v39
	;; [unrolled: 1-line block ×4, first 2 shown]
	v_fma_f32 v11, v10, v37, -v11
	v_mul_f32_e32 v10, v15, v38
	v_fmac_f32_e32 v13, v14, v38
	v_mul_f32_e32 v38, v7, v27
	v_fmac_f32_e32 v36, v4, v30
	v_mul_f32_e32 v7, v7, v26
	v_fma_f32 v4, v4, v31, -v5
	v_add_f32_e32 v5, v24, v25
	v_fmac_f32_e32 v40, v12, v42
	v_fma_f32 v15, v12, v43, -v8
	v_fma_f32 v37, v14, v39, -v10
	v_fmac_f32_e32 v38, v6, v26
	v_fma_f32 v26, v6, v27, -v7
	v_fma_f32 v6, -0.5, v5, v32
	v_sub_f32_e32 v5, v9, v11
	v_add_f32_e32 v8, v32, v24
	v_add_f32_e32 v7, v9, v11
	v_sub_f32_e32 v12, v24, v25
	v_add_f32_e32 v24, v15, v37
	v_fmamk_f32 v10, v5, 0xbf5db3d7, v6
	v_fmac_f32_e32 v6, 0x3f5db3d7, v5
	v_add_f32_e32 v5, v40, v13
	v_add_f32_e32 v9, v33, v9
	v_fma_f32 v7, -0.5, v7, v33
	v_add_f32_e32 v14, v34, v40
	v_add_f32_e32 v8, v8, v25
	v_fma_f32 v34, -0.5, v5, v34
	v_sub_f32_e32 v5, v15, v37
	v_add_f32_e32 v15, v35, v15
	v_fmac_f32_e32 v35, -0.5, v24
	v_sub_f32_e32 v24, v40, v13
	v_add_f32_e32 v9, v9, v11
	v_fmamk_f32 v11, v12, 0x3f5db3d7, v7
	v_fmac_f32_e32 v7, 0xbf5db3d7, v12
	v_add_f32_e32 v12, v14, v13
	v_fmamk_f32 v14, v5, 0xbf5db3d7, v34
	v_fmac_f32_e32 v34, 0x3f5db3d7, v5
	v_add_f32_e32 v13, v15, v37
	v_add_f32_e32 v5, v36, v38
	v_fmamk_f32 v15, v24, 0x3f5db3d7, v35
	v_fmac_f32_e32 v35, 0xbf5db3d7, v24
	v_add_f32_e32 v24, v4, v26
	v_add_f32_e32 v25, v36, v28
	v_fmac_f32_e32 v28, -0.5, v5
	v_sub_f32_e32 v5, v4, v26
	v_add_f32_e32 v27, v4, v29
	v_fmac_f32_e32 v29, -0.5, v24
	v_sub_f32_e32 v24, v36, v38
	v_add_f32_e32 v30, v25, v38
	v_fmamk_f32 v4, v5, 0xbf5db3d7, v28
	v_fmac_f32_e32 v28, 0x3f5db3d7, v5
	v_add_f32_e32 v31, v26, v27
	v_fmamk_f32 v5, v24, 0x3f5db3d7, v29
	v_fmac_f32_e32 v29, 0xbf5db3d7, v24
	s_barrier
	buffer_gl0_inv
	ds_write2_b64 v72, v[8:9], v[10:11] offset1:8
	ds_write_b64 v72, v[6:7] offset:128
	ds_write2_b64 v71, v[12:13], v[14:15] offset1:8
	ds_write_b64 v71, v[34:35] offset:128
	s_and_saveexec_b32 s0, vcc_lo
	s_cbranch_execz .LBB0_13
; %bb.12:
	v_add_nc_u32_e32 v6, v65, v70
	ds_write_b64 v6, v[4:5]
	ds_write2_b64 v69, v[30:31], v[28:29] offset0:48 offset1:64
.LBB0_13:
	s_or_b32 exec_lo, exec_lo, s0
	s_waitcnt lgkmcnt(0)
	s_barrier
	buffer_gl0_inv
	ds_read2_b64 v[8:11], v64 offset1:9
	ds_read2_b64 v[24:27], v64 offset0:24 offset1:33
	ds_read2_b64 v[12:15], v64 offset0:48 offset1:57
	v_add_nc_u32_e32 v32, 0x48, v64
	s_and_saveexec_b32 s0, vcc_lo
	s_cbranch_execz .LBB0_15
; %bb.14:
	ds_read2_b64 v[4:7], v64 offset0:42 offset1:66
	ds_read_b64 v[30:31], v68 offset:144
	s_waitcnt lgkmcnt(1)
	v_mov_b32_e32 v28, v6
	v_mov_b32_e32 v29, v7
.LBB0_15:
	s_or_b32 exec_lo, exec_lo, s0
	s_waitcnt lgkmcnt(1)
	v_mul_f32_e32 v33, v21, v25
	v_mul_f32_e32 v6, v21, v24
	s_waitcnt lgkmcnt(0)
	v_mul_f32_e32 v21, v23, v13
	v_mul_f32_e32 v7, v23, v12
	;; [unrolled: 1-line block ×3, first 2 shown]
	v_fmac_f32_e32 v33, v20, v24
	v_fma_f32 v20, v20, v25, -v6
	v_fmac_f32_e32 v21, v22, v12
	v_mul_f32_e32 v6, v17, v26
	v_fma_f32 v13, v22, v13, -v7
	v_mul_f32_e32 v7, v19, v14
	v_mul_f32_e32 v17, v19, v15
	v_fmac_f32_e32 v23, v16, v26
	v_fma_f32 v16, v16, v27, -v6
	v_add_f32_e32 v6, v33, v21
	v_fma_f32 v15, v18, v15, -v7
	v_add_f32_e32 v7, v20, v13
	v_fmac_f32_e32 v17, v18, v14
	v_add_f32_e32 v12, v8, v33
	v_fma_f32 v6, -0.5, v6, v8
	v_sub_f32_e32 v14, v20, v13
	v_add_f32_e32 v18, v9, v20
	v_fma_f32 v7, -0.5, v7, v9
	v_sub_f32_e32 v19, v33, v21
	v_add_f32_e32 v8, v12, v21
	v_fmamk_f32 v12, v14, 0xbf5db3d7, v6
	v_fmac_f32_e32 v6, 0x3f5db3d7, v14
	v_add_f32_e32 v9, v18, v13
	v_add_f32_e32 v14, v23, v17
	;; [unrolled: 1-line block ×3, first 2 shown]
	v_fmamk_f32 v13, v19, 0x3f5db3d7, v7
	v_fmac_f32_e32 v7, 0xbf5db3d7, v19
	v_add_f32_e32 v19, v10, v23
	v_add_f32_e32 v21, v11, v16
	v_fma_f32 v10, -0.5, v14, v10
	v_sub_f32_e32 v20, v16, v15
	v_fmac_f32_e32 v11, -0.5, v18
	v_sub_f32_e32 v18, v23, v17
	v_add_f32_e32 v14, v19, v17
	v_add_f32_e32 v15, v21, v15
	v_fmamk_f32 v16, v20, 0xbf5db3d7, v10
	v_fmac_f32_e32 v10, 0x3f5db3d7, v20
	v_fmamk_f32 v17, v18, 0x3f5db3d7, v11
	v_fmac_f32_e32 v11, 0xbf5db3d7, v18
	ds_write_b64 v64, v[8:9]
	ds_write2_b64 v68, v[12:13], v[6:7] offset0:24 offset1:48
	ds_write_b64 v64, v[14:15] offset:72
	ds_write2_b64 v32, v[16:17], v[10:11] offset0:24 offset1:48
	s_and_saveexec_b32 s0, vcc_lo
	s_cbranch_execz .LBB0_17
; %bb.16:
	v_mul_f32_e32 v6, v3, v28
	v_mul_f32_e32 v7, v1, v4
	;; [unrolled: 1-line block ×4, first 2 shown]
	v_fma_f32 v6, v2, v29, -v6
	v_fma_f32 v5, v0, v5, -v7
	v_fmac_f32_e32 v1, v0, v4
	v_fmac_f32_e32 v3, v2, v28
	v_add_f32_e32 v0, v5, v6
	v_add_f32_e32 v2, v5, v31
	;; [unrolled: 1-line block ×4, first 2 shown]
	v_sub_f32_e32 v8, v1, v3
	v_fmac_f32_e32 v31, -0.5, v0
	v_sub_f32_e32 v5, v5, v6
	v_fmac_f32_e32 v30, -0.5, v4
	v_add_f32_e32 v1, v6, v2
	v_add_f32_e32 v0, v7, v3
	v_fmamk_f32 v3, v8, 0xbf5db3d7, v31
	v_fmac_f32_e32 v31, 0x3f5db3d7, v8
	v_fmamk_f32 v2, v5, 0x3f5db3d7, v30
	v_fmac_f32_e32 v30, 0xbf5db3d7, v5
	ds_write_b64 v68, v[0:1] offset:144
	ds_write2_b64 v68, v[30:31], v[2:3] offset0:42 offset1:66
.LBB0_17:
	s_or_b32 exec_lo, exec_lo, s0
	s_waitcnt lgkmcnt(0)
	s_barrier
	buffer_gl0_inv
	ds_read2_b64 v[0:3], v64 offset1:9
	ds_read_b64 v[14:15], v68 offset:144
	ds_read2_b64 v[4:7], v64 offset0:27 offset1:36
	ds_read2_b64 v[8:11], v64 offset0:45 offset1:54
	ds_read_b64 v[18:19], v64 offset:504
	v_mad_u64_u32 v[12:13], null, s10, v44, 0
	v_mad_u64_u32 v[16:17], null, s8, v63, 0
	s_mov_b32 s0, 0x1c71c71c
	s_mov_b32 s1, 0x3f8c71c7
	s_waitcnt lgkmcnt(4)
	v_mul_f32_e32 v23, v46, v0
	s_waitcnt lgkmcnt(3)
	v_mad_u64_u32 v[20:21], null, s11, v44, v[13:14]
	v_mul_f32_e32 v13, v46, v1
	s_waitcnt lgkmcnt(0)
	v_mad_u64_u32 v[21:22], null, s9, v63, v[17:18]
	v_fma_f32 v22, v45, v1, -v23
	v_mul_f32_e32 v24, v48, v3
	v_fmac_f32_e32 v13, v45, v0
	v_mul_f32_e32 v17, v48, v2
	v_mul_f32_e32 v27, v52, v5
	v_cvt_f64_f32_e32 v[22:23], v22
	v_fmac_f32_e32 v24, v47, v2
	v_cvt_f64_f32_e32 v[0:1], v13
	v_fma_f32 v36, v47, v3, -v17
	v_mul_f32_e32 v28, v52, v4
	v_mov_b32_e32 v13, v20
	v_mov_b32_e32 v17, v21
	v_cvt_f64_f32_e32 v[2:3], v24
	v_cvt_f64_f32_e32 v[20:21], v36
	v_fmac_f32_e32 v27, v51, v4
	v_fma_f32 v24, v51, v5, -v28
	v_mul_f32_e32 v25, v50, v15
	v_mul_f32_e32 v26, v50, v14
	;; [unrolled: 1-line block ×7, first 2 shown]
	v_fmac_f32_e32 v25, v49, v14
	v_fma_f32 v14, v49, v15, -v26
	v_mul_f32_e32 v32, v56, v8
	v_mul_f32_e32 v35, v58, v19
	v_mul_f64 v[4:5], v[22:23], s[0:1]
	v_mul_f32_e32 v37, v58, v18
	v_mul_f64 v[0:1], v[0:1], s[0:1]
	v_fmac_f32_e32 v29, v53, v6
	v_fma_f32 v26, v53, v7, -v30
	v_fmac_f32_e32 v31, v55, v8
	v_fmac_f32_e32 v33, v59, v10
	v_fma_f32 v30, v59, v11, -v34
	v_lshlrev_b64 v[6:7], 3, v[12:13]
	v_cvt_f64_f32_e32 v[10:11], v25
	v_cvt_f64_f32_e32 v[12:13], v14
	v_fma_f32 v28, v55, v9, -v32
	v_lshlrev_b64 v[8:9], 3, v[16:17]
	v_cvt_f64_f32_e32 v[14:15], v27
	v_cvt_f64_f32_e32 v[16:17], v24
	;; [unrolled: 1-line block ×4, first 2 shown]
	v_fmac_f32_e32 v35, v57, v18
	v_fma_f32 v31, v57, v19, -v37
	v_cvt_f64_f32_e32 v[22:23], v29
	v_mul_f64 v[2:3], v[2:3], s[0:1]
	v_mul_f64 v[20:21], v[20:21], s[0:1]
	v_add_co_u32 v32, vcc_lo, s2, v6
	v_cvt_f32_f64_e32 v0, v[0:1]
	v_cvt_f32_f64_e32 v1, v[4:5]
	v_cvt_f64_f32_e32 v[4:5], v28
	v_add_co_ci_u32_e32 v34, vcc_lo, s3, v7, vcc_lo
	v_cvt_f64_f32_e32 v[6:7], v33
	v_cvt_f64_f32_e32 v[18:19], v30
	;; [unrolled: 1-line block ×4, first 2 shown]
	v_mul_f64 v[10:11], v[10:11], s[0:1]
	v_mul_f64 v[12:13], v[12:13], s[0:1]
	;; [unrolled: 1-line block ×4, first 2 shown]
	v_add_co_u32 v8, vcc_lo, v32, v8
	s_mul_i32 s2, s9, 0x48
	s_mul_hi_u32 s3, s8, 0x48
	v_add_co_ci_u32_e32 v9, vcc_lo, v34, v9, vcc_lo
	v_cvt_f32_f64_e32 v2, v[2:3]
	v_cvt_f32_f64_e32 v3, v[20:21]
	v_mul_f64 v[20:21], v[22:23], s[0:1]
	v_mul_f64 v[22:23], v[24:25], s[0:1]
	;; [unrolled: 1-line block ×4, first 2 shown]
	s_add_i32 s3, s3, s2
	s_mul_i32 s2, s8, 0x48
	v_mul_f64 v[6:7], v[6:7], s[0:1]
	v_mul_f64 v[18:19], v[18:19], s[0:1]
	;; [unrolled: 1-line block ×4, first 2 shown]
	v_add_co_u32 v30, vcc_lo, v8, s2
	v_add_co_ci_u32_e32 v31, vcc_lo, s3, v9, vcc_lo
	v_cvt_f32_f64_e32 v10, v[10:11]
	v_cvt_f32_f64_e32 v11, v[12:13]
	v_add_co_u32 v12, vcc_lo, v30, s2
	v_add_co_ci_u32_e32 v13, vcc_lo, s3, v31, vcc_lo
	v_cvt_f32_f64_e32 v14, v[14:15]
	v_cvt_f32_f64_e32 v15, v[16:17]
	;; [unrolled: 4-line block ×3, first 2 shown]
	v_cvt_f32_f64_e32 v22, v[24:25]
	v_cvt_f32_f64_e32 v23, v[4:5]
	v_cvt_f32_f64_e32 v4, v[6:7]
	v_cvt_f32_f64_e32 v5, v[18:19]
	v_cvt_f32_f64_e32 v6, v[26:27]
	v_cvt_f32_f64_e32 v7, v[28:29]
	v_add_co_u32 v18, vcc_lo, v16, s2
	v_add_co_ci_u32_e32 v19, vcc_lo, s3, v17, vcc_lo
	global_store_dwordx2 v[8:9], v[0:1], off
	v_add_co_u32 v0, vcc_lo, v18, s2
	v_add_co_ci_u32_e32 v1, vcc_lo, s3, v19, vcc_lo
	global_store_dwordx2 v[30:31], v[2:3], off
	;; [unrolled: 3-line block ×4, first 2 shown]
	global_store_dwordx2 v[18:19], v[20:21], off
	global_store_dwordx2 v[0:1], v[22:23], off
	;; [unrolled: 1-line block ×4, first 2 shown]
.LBB0_18:
	s_endpgm
	.section	.rodata,"a",@progbits
	.p2align	6, 0x0
	.amdhsa_kernel bluestein_single_fwd_len72_dim1_sp_op_CI_CI
		.amdhsa_group_segment_fixed_size 4032
		.amdhsa_private_segment_fixed_size 0
		.amdhsa_kernarg_size 104
		.amdhsa_user_sgpr_count 6
		.amdhsa_user_sgpr_private_segment_buffer 1
		.amdhsa_user_sgpr_dispatch_ptr 0
		.amdhsa_user_sgpr_queue_ptr 0
		.amdhsa_user_sgpr_kernarg_segment_ptr 1
		.amdhsa_user_sgpr_dispatch_id 0
		.amdhsa_user_sgpr_flat_scratch_init 0
		.amdhsa_user_sgpr_private_segment_size 0
		.amdhsa_wavefront_size32 1
		.amdhsa_uses_dynamic_stack 0
		.amdhsa_system_sgpr_private_segment_wavefront_offset 0
		.amdhsa_system_sgpr_workgroup_id_x 1
		.amdhsa_system_sgpr_workgroup_id_y 0
		.amdhsa_system_sgpr_workgroup_id_z 0
		.amdhsa_system_sgpr_workgroup_info 0
		.amdhsa_system_vgpr_workitem_id 0
		.amdhsa_next_free_vgpr 94
		.amdhsa_next_free_sgpr 20
		.amdhsa_reserve_vcc 1
		.amdhsa_reserve_flat_scratch 0
		.amdhsa_float_round_mode_32 0
		.amdhsa_float_round_mode_16_64 0
		.amdhsa_float_denorm_mode_32 3
		.amdhsa_float_denorm_mode_16_64 3
		.amdhsa_dx10_clamp 1
		.amdhsa_ieee_mode 1
		.amdhsa_fp16_overflow 0
		.amdhsa_workgroup_processor_mode 1
		.amdhsa_memory_ordered 1
		.amdhsa_forward_progress 0
		.amdhsa_shared_vgpr_count 0
		.amdhsa_exception_fp_ieee_invalid_op 0
		.amdhsa_exception_fp_denorm_src 0
		.amdhsa_exception_fp_ieee_div_zero 0
		.amdhsa_exception_fp_ieee_overflow 0
		.amdhsa_exception_fp_ieee_underflow 0
		.amdhsa_exception_fp_ieee_inexact 0
		.amdhsa_exception_int_div_zero 0
	.end_amdhsa_kernel
	.text
.Lfunc_end0:
	.size	bluestein_single_fwd_len72_dim1_sp_op_CI_CI, .Lfunc_end0-bluestein_single_fwd_len72_dim1_sp_op_CI_CI
                                        ; -- End function
	.section	.AMDGPU.csdata,"",@progbits
; Kernel info:
; codeLenInByte = 5028
; NumSgprs: 22
; NumVgprs: 94
; ScratchSize: 0
; MemoryBound: 0
; FloatMode: 240
; IeeeMode: 1
; LDSByteSize: 4032 bytes/workgroup (compile time only)
; SGPRBlocks: 2
; VGPRBlocks: 11
; NumSGPRsForWavesPerEU: 22
; NumVGPRsForWavesPerEU: 94
; Occupancy: 10
; WaveLimiterHint : 1
; COMPUTE_PGM_RSRC2:SCRATCH_EN: 0
; COMPUTE_PGM_RSRC2:USER_SGPR: 6
; COMPUTE_PGM_RSRC2:TRAP_HANDLER: 0
; COMPUTE_PGM_RSRC2:TGID_X_EN: 1
; COMPUTE_PGM_RSRC2:TGID_Y_EN: 0
; COMPUTE_PGM_RSRC2:TGID_Z_EN: 0
; COMPUTE_PGM_RSRC2:TIDIG_COMP_CNT: 0
	.text
	.p2alignl 6, 3214868480
	.fill 48, 4, 3214868480
	.type	__hip_cuid_810ca861711e73c3,@object ; @__hip_cuid_810ca861711e73c3
	.section	.bss,"aw",@nobits
	.globl	__hip_cuid_810ca861711e73c3
__hip_cuid_810ca861711e73c3:
	.byte	0                               ; 0x0
	.size	__hip_cuid_810ca861711e73c3, 1

	.ident	"AMD clang version 19.0.0git (https://github.com/RadeonOpenCompute/llvm-project roc-6.4.0 25133 c7fe45cf4b819c5991fe208aaa96edf142730f1d)"
	.section	".note.GNU-stack","",@progbits
	.addrsig
	.addrsig_sym __hip_cuid_810ca861711e73c3
	.amdgpu_metadata
---
amdhsa.kernels:
  - .args:
      - .actual_access:  read_only
        .address_space:  global
        .offset:         0
        .size:           8
        .value_kind:     global_buffer
      - .actual_access:  read_only
        .address_space:  global
        .offset:         8
        .size:           8
        .value_kind:     global_buffer
      - .actual_access:  read_only
        .address_space:  global
        .offset:         16
        .size:           8
        .value_kind:     global_buffer
      - .actual_access:  read_only
        .address_space:  global
        .offset:         24
        .size:           8
        .value_kind:     global_buffer
      - .actual_access:  read_only
        .address_space:  global
        .offset:         32
        .size:           8
        .value_kind:     global_buffer
      - .offset:         40
        .size:           8
        .value_kind:     by_value
      - .address_space:  global
        .offset:         48
        .size:           8
        .value_kind:     global_buffer
      - .address_space:  global
        .offset:         56
        .size:           8
        .value_kind:     global_buffer
      - .address_space:  global
        .offset:         64
        .size:           8
        .value_kind:     global_buffer
      - .address_space:  global
        .offset:         72
        .size:           8
        .value_kind:     global_buffer
      - .offset:         80
        .size:           4
        .value_kind:     by_value
      - .address_space:  global
        .offset:         88
        .size:           8
        .value_kind:     global_buffer
      - .address_space:  global
        .offset:         96
        .size:           8
        .value_kind:     global_buffer
    .group_segment_fixed_size: 4032
    .kernarg_segment_align: 8
    .kernarg_segment_size: 104
    .language:       OpenCL C
    .language_version:
      - 2
      - 0
    .max_flat_workgroup_size: 63
    .name:           bluestein_single_fwd_len72_dim1_sp_op_CI_CI
    .private_segment_fixed_size: 0
    .sgpr_count:     22
    .sgpr_spill_count: 0
    .symbol:         bluestein_single_fwd_len72_dim1_sp_op_CI_CI.kd
    .uniform_work_group_size: 1
    .uses_dynamic_stack: false
    .vgpr_count:     94
    .vgpr_spill_count: 0
    .wavefront_size: 32
    .workgroup_processor_mode: 1
amdhsa.target:   amdgcn-amd-amdhsa--gfx1030
amdhsa.version:
  - 1
  - 2
...

	.end_amdgpu_metadata
